;; amdgpu-corpus repo=ROCm/rocFFT kind=compiled arch=gfx906 opt=O3
	.text
	.amdgcn_target "amdgcn-amd-amdhsa--gfx906"
	.amdhsa_code_object_version 6
	.protected	fft_rtc_back_len864_factors_3_6_16_3_wgs_54_tpt_54_halfLds_sp_ip_CI_unitstride_sbrr_R2C_dirReg ; -- Begin function fft_rtc_back_len864_factors_3_6_16_3_wgs_54_tpt_54_halfLds_sp_ip_CI_unitstride_sbrr_R2C_dirReg
	.globl	fft_rtc_back_len864_factors_3_6_16_3_wgs_54_tpt_54_halfLds_sp_ip_CI_unitstride_sbrr_R2C_dirReg
	.p2align	8
	.type	fft_rtc_back_len864_factors_3_6_16_3_wgs_54_tpt_54_halfLds_sp_ip_CI_unitstride_sbrr_R2C_dirReg,@function
fft_rtc_back_len864_factors_3_6_16_3_wgs_54_tpt_54_halfLds_sp_ip_CI_unitstride_sbrr_R2C_dirReg: ; @fft_rtc_back_len864_factors_3_6_16_3_wgs_54_tpt_54_halfLds_sp_ip_CI_unitstride_sbrr_R2C_dirReg
; %bb.0:
	s_load_dwordx2 s[12:13], s[4:5], 0x50
	s_load_dwordx4 s[8:11], s[4:5], 0x0
	s_load_dwordx2 s[2:3], s[4:5], 0x18
	v_mul_u32_u24_e32 v1, 0x4be, v0
	v_add_u32_sdwa v5, s6, v1 dst_sel:DWORD dst_unused:UNUSED_PAD src0_sel:DWORD src1_sel:WORD_1
	v_mov_b32_e32 v3, 0
	s_waitcnt lgkmcnt(0)
	v_cmp_lt_u64_e64 s[0:1], s[10:11], 2
	v_mov_b32_e32 v1, 0
	v_mov_b32_e32 v6, v3
	s_and_b64 vcc, exec, s[0:1]
	v_mov_b32_e32 v2, 0
	s_cbranch_vccnz .LBB0_8
; %bb.1:
	s_load_dwordx2 s[0:1], s[4:5], 0x10
	s_add_u32 s6, s2, 8
	s_addc_u32 s7, s3, 0
	v_mov_b32_e32 v1, 0
	v_mov_b32_e32 v2, 0
	s_waitcnt lgkmcnt(0)
	s_add_u32 s14, s0, 8
	s_addc_u32 s15, s1, 0
	s_mov_b64 s[16:17], 1
.LBB0_2:                                ; =>This Inner Loop Header: Depth=1
	s_load_dwordx2 s[18:19], s[14:15], 0x0
                                        ; implicit-def: $vgpr7_vgpr8
	s_waitcnt lgkmcnt(0)
	v_or_b32_e32 v4, s19, v6
	v_cmp_ne_u64_e32 vcc, 0, v[3:4]
	s_and_saveexec_b64 s[0:1], vcc
	s_xor_b64 s[20:21], exec, s[0:1]
	s_cbranch_execz .LBB0_4
; %bb.3:                                ;   in Loop: Header=BB0_2 Depth=1
	v_cvt_f32_u32_e32 v4, s18
	v_cvt_f32_u32_e32 v7, s19
	s_sub_u32 s0, 0, s18
	s_subb_u32 s1, 0, s19
	v_mac_f32_e32 v4, 0x4f800000, v7
	v_rcp_f32_e32 v4, v4
	v_mul_f32_e32 v4, 0x5f7ffffc, v4
	v_mul_f32_e32 v7, 0x2f800000, v4
	v_trunc_f32_e32 v7, v7
	v_mac_f32_e32 v4, 0xcf800000, v7
	v_cvt_u32_f32_e32 v7, v7
	v_cvt_u32_f32_e32 v4, v4
	v_mul_lo_u32 v8, s0, v7
	v_mul_hi_u32 v9, s0, v4
	v_mul_lo_u32 v11, s1, v4
	v_mul_lo_u32 v10, s0, v4
	v_add_u32_e32 v8, v9, v8
	v_add_u32_e32 v8, v8, v11
	v_mul_hi_u32 v9, v4, v10
	v_mul_lo_u32 v11, v4, v8
	v_mul_hi_u32 v13, v4, v8
	v_mul_hi_u32 v12, v7, v10
	v_mul_lo_u32 v10, v7, v10
	v_mul_hi_u32 v14, v7, v8
	v_add_co_u32_e32 v9, vcc, v9, v11
	v_addc_co_u32_e32 v11, vcc, 0, v13, vcc
	v_mul_lo_u32 v8, v7, v8
	v_add_co_u32_e32 v9, vcc, v9, v10
	v_addc_co_u32_e32 v9, vcc, v11, v12, vcc
	v_addc_co_u32_e32 v10, vcc, 0, v14, vcc
	v_add_co_u32_e32 v8, vcc, v9, v8
	v_addc_co_u32_e32 v9, vcc, 0, v10, vcc
	v_add_co_u32_e32 v4, vcc, v4, v8
	v_addc_co_u32_e32 v7, vcc, v7, v9, vcc
	v_mul_lo_u32 v8, s0, v7
	v_mul_hi_u32 v9, s0, v4
	v_mul_lo_u32 v10, s1, v4
	v_mul_lo_u32 v11, s0, v4
	v_add_u32_e32 v8, v9, v8
	v_add_u32_e32 v8, v8, v10
	v_mul_lo_u32 v12, v4, v8
	v_mul_hi_u32 v13, v4, v11
	v_mul_hi_u32 v14, v4, v8
	;; [unrolled: 1-line block ×3, first 2 shown]
	v_mul_lo_u32 v11, v7, v11
	v_mul_hi_u32 v9, v7, v8
	v_add_co_u32_e32 v12, vcc, v13, v12
	v_addc_co_u32_e32 v13, vcc, 0, v14, vcc
	v_mul_lo_u32 v8, v7, v8
	v_add_co_u32_e32 v11, vcc, v12, v11
	v_addc_co_u32_e32 v10, vcc, v13, v10, vcc
	v_addc_co_u32_e32 v9, vcc, 0, v9, vcc
	v_add_co_u32_e32 v8, vcc, v10, v8
	v_addc_co_u32_e32 v9, vcc, 0, v9, vcc
	v_add_co_u32_e32 v4, vcc, v4, v8
	v_addc_co_u32_e32 v9, vcc, v7, v9, vcc
	v_mad_u64_u32 v[7:8], s[0:1], v5, v9, 0
	v_mul_hi_u32 v10, v5, v4
	v_add_co_u32_e32 v11, vcc, v10, v7
	v_addc_co_u32_e32 v12, vcc, 0, v8, vcc
	v_mad_u64_u32 v[7:8], s[0:1], v6, v4, 0
	v_mad_u64_u32 v[9:10], s[0:1], v6, v9, 0
	v_add_co_u32_e32 v4, vcc, v11, v7
	v_addc_co_u32_e32 v4, vcc, v12, v8, vcc
	v_addc_co_u32_e32 v7, vcc, 0, v10, vcc
	v_add_co_u32_e32 v4, vcc, v4, v9
	v_addc_co_u32_e32 v9, vcc, 0, v7, vcc
	v_mul_lo_u32 v10, s19, v4
	v_mul_lo_u32 v11, s18, v9
	v_mad_u64_u32 v[7:8], s[0:1], s18, v4, 0
	v_add3_u32 v8, v8, v11, v10
	v_sub_u32_e32 v10, v6, v8
	v_mov_b32_e32 v11, s19
	v_sub_co_u32_e32 v7, vcc, v5, v7
	v_subb_co_u32_e64 v10, s[0:1], v10, v11, vcc
	v_subrev_co_u32_e64 v11, s[0:1], s18, v7
	v_subbrev_co_u32_e64 v10, s[0:1], 0, v10, s[0:1]
	v_cmp_le_u32_e64 s[0:1], s19, v10
	v_cndmask_b32_e64 v12, 0, -1, s[0:1]
	v_cmp_le_u32_e64 s[0:1], s18, v11
	v_cndmask_b32_e64 v11, 0, -1, s[0:1]
	v_cmp_eq_u32_e64 s[0:1], s19, v10
	v_cndmask_b32_e64 v10, v12, v11, s[0:1]
	v_add_co_u32_e64 v11, s[0:1], 2, v4
	v_addc_co_u32_e64 v12, s[0:1], 0, v9, s[0:1]
	v_add_co_u32_e64 v13, s[0:1], 1, v4
	v_addc_co_u32_e64 v14, s[0:1], 0, v9, s[0:1]
	v_subb_co_u32_e32 v8, vcc, v6, v8, vcc
	v_cmp_ne_u32_e64 s[0:1], 0, v10
	v_cmp_le_u32_e32 vcc, s19, v8
	v_cndmask_b32_e64 v10, v14, v12, s[0:1]
	v_cndmask_b32_e64 v12, 0, -1, vcc
	v_cmp_le_u32_e32 vcc, s18, v7
	v_cndmask_b32_e64 v7, 0, -1, vcc
	v_cmp_eq_u32_e32 vcc, s19, v8
	v_cndmask_b32_e32 v7, v12, v7, vcc
	v_cmp_ne_u32_e32 vcc, 0, v7
	v_cndmask_b32_e64 v7, v13, v11, s[0:1]
	v_cndmask_b32_e32 v8, v9, v10, vcc
	v_cndmask_b32_e32 v7, v4, v7, vcc
.LBB0_4:                                ;   in Loop: Header=BB0_2 Depth=1
	s_andn2_saveexec_b64 s[0:1], s[20:21]
	s_cbranch_execz .LBB0_6
; %bb.5:                                ;   in Loop: Header=BB0_2 Depth=1
	v_cvt_f32_u32_e32 v4, s18
	s_sub_i32 s20, 0, s18
	v_rcp_iflag_f32_e32 v4, v4
	v_mul_f32_e32 v4, 0x4f7ffffe, v4
	v_cvt_u32_f32_e32 v4, v4
	v_mul_lo_u32 v7, s20, v4
	v_mul_hi_u32 v7, v4, v7
	v_add_u32_e32 v4, v4, v7
	v_mul_hi_u32 v4, v5, v4
	v_mul_lo_u32 v7, v4, s18
	v_add_u32_e32 v8, 1, v4
	v_sub_u32_e32 v7, v5, v7
	v_subrev_u32_e32 v9, s18, v7
	v_cmp_le_u32_e32 vcc, s18, v7
	v_cndmask_b32_e32 v7, v7, v9, vcc
	v_cndmask_b32_e32 v4, v4, v8, vcc
	v_add_u32_e32 v8, 1, v4
	v_cmp_le_u32_e32 vcc, s18, v7
	v_cndmask_b32_e32 v7, v4, v8, vcc
	v_mov_b32_e32 v8, v3
.LBB0_6:                                ;   in Loop: Header=BB0_2 Depth=1
	s_or_b64 exec, exec, s[0:1]
	v_mul_lo_u32 v4, v8, s18
	v_mul_lo_u32 v11, v7, s19
	v_mad_u64_u32 v[9:10], s[0:1], v7, s18, 0
	s_load_dwordx2 s[0:1], s[6:7], 0x0
	s_add_u32 s16, s16, 1
	v_add3_u32 v4, v10, v11, v4
	v_sub_co_u32_e32 v5, vcc, v5, v9
	v_subb_co_u32_e32 v4, vcc, v6, v4, vcc
	s_waitcnt lgkmcnt(0)
	v_mul_lo_u32 v4, s0, v4
	v_mul_lo_u32 v6, s1, v5
	v_mad_u64_u32 v[1:2], s[0:1], s0, v5, v[1:2]
	s_addc_u32 s17, s17, 0
	s_add_u32 s6, s6, 8
	v_add3_u32 v2, v6, v2, v4
	v_mov_b32_e32 v4, s10
	v_mov_b32_e32 v5, s11
	s_addc_u32 s7, s7, 0
	v_cmp_ge_u64_e32 vcc, s[16:17], v[4:5]
	s_add_u32 s14, s14, 8
	s_addc_u32 s15, s15, 0
	s_cbranch_vccnz .LBB0_9
; %bb.7:                                ;   in Loop: Header=BB0_2 Depth=1
	v_mov_b32_e32 v5, v7
	v_mov_b32_e32 v6, v8
	s_branch .LBB0_2
.LBB0_8:
	v_mov_b32_e32 v8, v6
	v_mov_b32_e32 v7, v5
.LBB0_9:
	s_lshl_b64 s[0:1], s[10:11], 3
	s_add_u32 s0, s2, s0
	s_addc_u32 s1, s3, s1
	s_load_dwordx2 s[2:3], s[0:1], 0x0
	s_load_dwordx2 s[6:7], s[4:5], 0x20
                                        ; implicit-def: $vgpr42
                                        ; implicit-def: $vgpr41
                                        ; implicit-def: $vgpr38
                                        ; implicit-def: $vgpr40
	s_waitcnt lgkmcnt(0)
	v_mad_u64_u32 v[1:2], s[0:1], s2, v7, v[1:2]
	s_mov_b32 s0, 0x4bda130
	v_mul_lo_u32 v3, s2, v8
	v_mul_lo_u32 v4, s3, v7
	v_mul_hi_u32 v5, v0, s0
	v_cmp_gt_u64_e64 s[0:1], s[6:7], v[7:8]
	v_cmp_le_u64_e32 vcc, s[6:7], v[7:8]
	v_add3_u32 v2, v4, v2, v3
	v_mul_u32_u24_e32 v3, 54, v5
	v_sub_u32_e32 v32, v0, v3
	v_add_u32_e32 v36, 54, v32
	s_and_saveexec_b64 s[2:3], vcc
	s_xor_b64 s[2:3], exec, s[2:3]
; %bb.10:
	v_add_u32_e32 v36, 54, v32
	v_add_u32_e32 v42, 0x6c, v32
	;; [unrolled: 1-line block ×5, first 2 shown]
; %bb.11:
	s_or_saveexec_b64 s[2:3], s[2:3]
	v_lshlrev_b64 v[34:35], 3, v[1:2]
	v_lshl_add_u32 v49, v32, 3, 0
	s_xor_b64 exec, exec, s[2:3]
	s_cbranch_execz .LBB0_13
; %bb.12:
	v_mov_b32_e32 v33, 0
	v_mov_b32_e32 v0, s13
	v_add_co_u32_e32 v2, vcc, s12, v34
	v_addc_co_u32_e32 v3, vcc, v0, v35, vcc
	v_lshlrev_b64 v[0:1], 3, v[32:33]
	s_movk_i32 s4, 0x1000
	v_add_co_u32_e32 v0, vcc, v2, v0
	v_addc_co_u32_e32 v1, vcc, v3, v1, vcc
	v_add_co_u32_e32 v18, vcc, s4, v0
	global_load_dwordx2 v[2:3], v[0:1], off
	global_load_dwordx2 v[4:5], v[0:1], off offset:432
	global_load_dwordx2 v[6:7], v[0:1], off offset:864
	;; [unrolled: 1-line block ×7, first 2 shown]
	v_addc_co_u32_e32 v19, vcc, 0, v1, vcc
	global_load_dwordx2 v[20:21], v[0:1], off offset:3456
	global_load_dwordx2 v[22:23], v[0:1], off offset:3888
	;; [unrolled: 1-line block ×8, first 2 shown]
	v_add_u32_e32 v42, 0x6c, v32
	v_add_u32_e32 v41, 0xa2, v32
	;; [unrolled: 1-line block ×8, first 2 shown]
	s_waitcnt vmcnt(14)
	ds_write2_b64 v49, v[2:3], v[4:5] offset1:54
	s_waitcnt vmcnt(10)
	ds_write2_b64 v0, v[10:11], v[12:13] offset0:88 offset1:142
	ds_write2_b64 v49, v[6:7], v[8:9] offset0:108 offset1:162
	s_waitcnt vmcnt(8)
	ds_write2_b64 v1, v[14:15], v[16:17] offset0:68 offset1:122
	s_waitcnt vmcnt(6)
	ds_write2_b64 v1, v[20:21], v[22:23] offset0:176 offset1:230
	s_waitcnt vmcnt(4)
	ds_write2_b64 v18, v[24:25], v[26:27] offset0:28 offset1:82
	s_waitcnt vmcnt(2)
	ds_write2_b64 v18, v[28:29], v[30:31] offset0:136 offset1:190
	s_waitcnt vmcnt(0)
	ds_write2_b64 v19, v[43:44], v[45:46] offset0:116 offset1:170
.LBB0_13:
	s_or_b64 exec, exec, s[2:3]
	v_add_u32_e32 v20, 0x800, v49
	s_waitcnt lgkmcnt(0)
	; wave barrier
	s_waitcnt lgkmcnt(0)
	ds_read2_b64 v[4:7], v49 offset1:54
	ds_read2_b64 v[8:11], v20 offset0:32 offset1:86
	v_add_u32_e32 v28, 0x1000, v49
	ds_read2_b64 v[13:16], v28 offset0:64 offset1:118
	ds_read2_b64 v[43:46], v49 offset0:108 offset1:162
	;; [unrolled: 1-line block ×4, first 2 shown]
	v_add_u32_e32 v17, 0x1800, v49
	ds_read2_b64 v[62:65], v17 offset0:24 offset1:78
	s_waitcnt lgkmcnt(5)
	v_add_f32_e32 v17, v4, v8
	s_waitcnt lgkmcnt(4)
	v_add_f32_e32 v21, v17, v13
	v_add_f32_e32 v17, v8, v13
	v_fma_f32 v4, -0.5, v17, v4
	v_sub_f32_e32 v17, v9, v14
	v_mov_b32_e32 v25, v4
	v_fmac_f32_e32 v25, 0xbf5db3d7, v17
	v_fmac_f32_e32 v4, 0x3f5db3d7, v17
	v_add_f32_e32 v17, v5, v9
	v_add_f32_e32 v9, v9, v14
	v_fma_f32 v5, -0.5, v9, v5
	v_sub_f32_e32 v8, v8, v13
	v_mov_b32_e32 v26, v5
	v_fmac_f32_e32 v26, 0x3f5db3d7, v8
	v_fmac_f32_e32 v5, 0xbf5db3d7, v8
	v_add_f32_e32 v8, v6, v10
	v_add_f32_e32 v13, v8, v15
	;; [unrolled: 1-line block ×3, first 2 shown]
	v_fma_f32 v6, -0.5, v8, v6
	v_sub_f32_e32 v8, v11, v16
	v_mov_b32_e32 v29, v6
	v_fmac_f32_e32 v29, 0xbf5db3d7, v8
	v_fmac_f32_e32 v6, 0x3f5db3d7, v8
	v_add_f32_e32 v8, v7, v11
	v_add_f32_e32 v22, v17, v14
	;; [unrolled: 1-line block ×4, first 2 shown]
	v_fmac_f32_e32 v7, -0.5, v8
	v_sub_f32_e32 v8, v10, v15
	v_mov_b32_e32 v30, v7
	v_fmac_f32_e32 v30, 0x3f5db3d7, v8
	v_fmac_f32_e32 v7, 0xbf5db3d7, v8
	s_waitcnt lgkmcnt(2)
	v_add_f32_e32 v8, v43, v50
	s_waitcnt lgkmcnt(1)
	v_add_f32_e32 v47, v8, v54
	v_add_f32_e32 v8, v50, v54
	v_fma_f32 v66, -0.5, v8, v43
	v_sub_f32_e32 v8, v51, v55
	v_mov_b32_e32 v68, v66
	v_fmac_f32_e32 v68, 0xbf5db3d7, v8
	v_fmac_f32_e32 v66, 0x3f5db3d7, v8
	v_add_f32_e32 v8, v44, v51
	v_add_f32_e32 v48, v8, v55
	;; [unrolled: 1-line block ×3, first 2 shown]
	v_fma_f32 v67, -0.5, v8, v44
	v_sub_f32_e32 v8, v50, v54
	v_mov_b32_e32 v69, v67
	v_fmac_f32_e32 v69, 0x3f5db3d7, v8
	v_fmac_f32_e32 v67, 0xbf5db3d7, v8
	v_add_f32_e32 v8, v45, v52
	v_add_f32_e32 v50, v8, v56
	;; [unrolled: 1-line block ×3, first 2 shown]
	v_add_u32_e32 v12, 0x400, v49
	v_add_u32_e32 v24, 0xc00, v49
	v_fma_f32 v45, -0.5, v8, v45
	ds_read2_b64 v[0:3], v12 offset0:88 offset1:142
	ds_read2_b64 v[58:61], v24 offset0:120 offset1:174
	v_sub_f32_e32 v8, v53, v57
	v_mov_b32_e32 v54, v45
	v_fmac_f32_e32 v54, 0xbf5db3d7, v8
	v_fmac_f32_e32 v45, 0x3f5db3d7, v8
	v_add_f32_e32 v8, v46, v53
	v_add_f32_e32 v51, v8, v57
	;; [unrolled: 1-line block ×3, first 2 shown]
	v_fmac_f32_e32 v46, -0.5, v8
	v_sub_f32_e32 v8, v52, v56
	v_mov_b32_e32 v55, v46
	v_fmac_f32_e32 v55, 0x3f5db3d7, v8
	v_fmac_f32_e32 v46, 0xbf5db3d7, v8
	s_waitcnt lgkmcnt(0)
	v_add_f32_e32 v8, v0, v58
	v_add_f32_e32 v43, v8, v62
	v_add_f32_e32 v8, v58, v62
	v_fma_f32 v10, -0.5, v8, v0
	v_sub_f32_e32 v0, v59, v63
	v_mov_b32_e32 v8, v10
	v_fmac_f32_e32 v8, 0xbf5db3d7, v0
	v_fmac_f32_e32 v10, 0x3f5db3d7, v0
	v_add_f32_e32 v0, v1, v59
	v_add_f32_e32 v44, v0, v63
	v_add_f32_e32 v0, v59, v63
	v_fma_f32 v11, -0.5, v0, v1
	v_sub_f32_e32 v0, v58, v62
	v_mov_b32_e32 v9, v11
	v_fmac_f32_e32 v9, 0x3f5db3d7, v0
	v_fmac_f32_e32 v11, 0xbf5db3d7, v0
	;; [unrolled: 8-line block ×3, first 2 shown]
	v_add_f32_e32 v0, v3, v61
	v_add_f32_e32 v17, v0, v65
	;; [unrolled: 1-line block ×3, first 2 shown]
	v_fmac_f32_e32 v3, -0.5, v0
	v_sub_f32_e32 v0, v60, v64
	v_mov_b32_e32 v19, v3
	v_fmac_f32_e32 v19, 0x3f5db3d7, v0
	v_fmac_f32_e32 v3, 0xbf5db3d7, v0
	v_lshl_add_u32 v0, v32, 4, v49
	s_waitcnt lgkmcnt(0)
	; wave barrier
	ds_write2_b64 v0, v[21:22], v[25:26] offset1:1
	ds_write_b64 v0, v[4:5] offset:16
	v_mad_i32_i24 v33, v36, 24, 0
	v_mad_i32_i24 v39, v42, 24, 0
	v_mad_i32_i24 v0, v41, 24, 0
	ds_write2_b64 v33, v[13:14], v[29:30] offset1:1
	ds_write_b64 v33, v[6:7] offset:16
	ds_write2_b64 v39, v[47:48], v[68:69] offset1:1
	ds_write_b64 v39, v[66:67] offset:16
	;; [unrolled: 2-line block ×3, first 2 shown]
	v_mad_i32_i24 v0, v38, 24, 0
	v_cmp_gt_u32_e32 vcc, 18, v32
	ds_write2_b64 v0, v[43:44], v[8:9] offset1:1
	ds_write_b64 v0, v[10:11] offset:16
	s_and_saveexec_b64 s[2:3], vcc
	s_cbranch_execz .LBB0_15
; %bb.14:
	v_mad_i32_i24 v0, v40, 24, 0
	ds_write2_b64 v0, v[16:17], v[18:19] offset1:1
	ds_write_b64 v0, v[2:3] offset:16
.LBB0_15:
	s_or_b64 exec, exec, s[2:3]
	s_waitcnt lgkmcnt(0)
	; wave barrier
	s_waitcnt lgkmcnt(0)
	ds_read2_b64 v[4:7], v49 offset1:144
	ds_read2_b64 v[12:15], v12 offset0:70 offset1:160
	ds_read2_b64 v[20:23], v20 offset0:86 offset1:176
	;; [unrolled: 1-line block ×4, first 2 shown]
	v_lshlrev_b32_e32 v37, 4, v36
	v_sub_u32_e32 v0, v33, v37
	ds_read_b64 v[0:1], v0
	ds_read_b64 v[45:46], v49 offset:6192
	v_cmp_gt_u32_e64 s[2:3], 36, v32
	s_and_saveexec_b64 s[4:5], s[2:3]
	s_cbranch_execz .LBB0_17
; %bb.16:
	v_lshlrev_b32_e32 v2, 4, v42
	v_add_u32_e32 v3, 0x600, v49
	v_sub_u32_e32 v2, v39, v2
	ds_read2_b64 v[8:11], v3 offset0:60 offset1:204
	v_add_u32_e32 v3, 0x1000, v49
	ds_read2_b64 v[16:19], v3 offset0:28 offset1:172
	ds_read_b64 v[43:44], v2
	ds_read_b64 v[2:3], v49 offset:6624
.LBB0_17:
	s_or_b64 exec, exec, s[4:5]
	s_movk_i32 s4, 0xab
	v_mul_lo_u16_sdwa v39, v42, s4 dst_sel:DWORD dst_unused:UNUSED_PAD src0_sel:BYTE_0 src1_sel:DWORD
	v_lshrrev_b16_e32 v39, 9, v39
	v_mul_lo_u16_e32 v47, 3, v39
	v_mov_b32_e32 v54, 5
	v_sub_u16_e32 v47, v42, v47
	v_mul_u32_u24_sdwa v48, v47, v54 dst_sel:DWORD dst_unused:UNUSED_PAD src0_sel:BYTE_0 src1_sel:DWORD
	v_lshlrev_b32_e32 v55, 3, v48
	global_load_dwordx4 v[50:53], v55, s[8:9] offset:16
	s_waitcnt vmcnt(0) lgkmcnt(2)
	v_mul_f32_e32 v48, v17, v51
	v_fmac_f32_e32 v48, v16, v50
	v_mul_f32_e32 v16, v16, v51
	v_fma_f32 v17, v17, v50, -v16
	v_mul_f32_e32 v16, v19, v53
	v_fmac_f32_e32 v16, v18, v52
	v_mul_f32_e32 v18, v18, v53
	v_fma_f32 v18, v19, v52, -v18
	global_load_dwordx4 v[50:53], v55, s[8:9]
	s_waitcnt vmcnt(0)
	v_mul_f32_e32 v19, v11, v53
	v_fmac_f32_e32 v19, v10, v52
	v_mul_f32_e32 v10, v10, v53
	v_fma_f32 v11, v11, v52, -v10
	v_mul_f32_e32 v10, v9, v51
	v_fmac_f32_e32 v10, v8, v50
	v_mul_f32_e32 v8, v8, v51
	v_fma_f32 v8, v9, v50, -v8
	global_load_dwordx2 v[50:51], v55, s[8:9] offset:32
	v_mul_lo_u16_sdwa v9, v32, s4 dst_sel:DWORD dst_unused:UNUSED_PAD src0_sel:BYTE_0 src1_sel:DWORD
	v_lshrrev_b16_e32 v56, 9, v9
	s_waitcnt vmcnt(0) lgkmcnt(0)
	v_mul_f32_e32 v9, v3, v51
	v_mul_f32_e32 v51, v2, v51
	v_fmac_f32_e32 v9, v2, v50
	v_fma_f32 v2, v3, v50, -v51
	v_mul_lo_u16_e32 v3, 3, v56
	v_sub_u16_e32 v3, v32, v3
	v_mul_u32_u24_sdwa v50, v3, v54 dst_sel:DWORD dst_unused:UNUSED_PAD src0_sel:BYTE_0 src1_sel:DWORD
	v_lshlrev_b32_e32 v55, 3, v50
	global_load_dwordx2 v[50:51], v55, s[8:9] offset:32
	s_waitcnt vmcnt(0)
	v_mul_f32_e32 v57, v51, v31
	v_mul_f32_e32 v51, v51, v30
	v_fmac_f32_e32 v57, v50, v30
	v_mul_lo_u16_sdwa v30, v36, s4 dst_sel:DWORD dst_unused:UNUSED_PAD src0_sel:BYTE_0 src1_sel:DWORD
	v_lshrrev_b16_e32 v59, 9, v30
	v_mul_lo_u16_e32 v30, 3, v59
	v_sub_u16_e32 v60, v36, v30
	v_mul_u32_u24_sdwa v30, v60, v54 dst_sel:DWORD dst_unused:UNUSED_PAD src0_sel:BYTE_0 src1_sel:DWORD
	v_lshlrev_b32_e32 v54, 3, v30
	v_fma_f32 v58, v50, v31, -v51
	global_load_dwordx4 v[50:53], v54, s[8:9] offset:16
	s_waitcnt vmcnt(0)
	v_mul_f32_e32 v61, v29, v53
	v_fmac_f32_e32 v61, v28, v52
	v_mul_f32_e32 v28, v28, v53
	v_fma_f32 v52, v29, v52, -v28
	global_load_dwordx4 v[28:31], v55, s[8:9] offset:16
	v_mul_f32_e32 v53, v51, v25
	v_fmac_f32_e32 v53, v50, v24
	v_mul_f32_e32 v24, v51, v24
	v_fma_f32 v50, v50, v25, -v24
	s_waitcnt vmcnt(0)
	v_mul_f32_e32 v51, v31, v27
	v_mul_f32_e32 v24, v31, v26
	v_fmac_f32_e32 v51, v30, v26
	v_fma_f32 v26, v30, v27, -v24
	v_mul_f32_e32 v27, v29, v23
	v_fmac_f32_e32 v27, v28, v22
	v_mul_f32_e32 v22, v29, v22
	v_fma_f32 v28, v28, v23, -v22
	global_load_dwordx4 v[22:25], v54, s[8:9]
	s_waitcnt vmcnt(0)
	v_mul_f32_e32 v29, v25, v21
	v_mul_f32_e32 v62, v23, v13
	v_fmac_f32_e32 v29, v24, v20
	v_mul_f32_e32 v20, v25, v20
	v_fmac_f32_e32 v62, v22, v12
	v_mul_f32_e32 v12, v23, v12
	v_fma_f32 v30, v24, v21, -v20
	v_fma_f32 v63, v22, v13, -v12
	global_load_dwordx4 v[20:23], v55, s[8:9]
	s_waitcnt vmcnt(0)
	v_mul_f32_e32 v12, v23, v15
	v_fmac_f32_e32 v12, v22, v14
	v_mul_f32_e32 v13, v23, v14
	v_mul_f32_e32 v14, v21, v7
	v_fmac_f32_e32 v14, v20, v6
	v_mul_f32_e32 v6, v21, v6
	v_fma_f32 v13, v22, v15, -v13
	v_fma_f32 v15, v20, v7, -v6
	global_load_dwordx2 v[6:7], v54, s[8:9] offset:32
	v_add_f32_e32 v20, v13, v26
	s_waitcnt lgkmcnt(0)
	; wave barrier
	s_waitcnt vmcnt(0)
	v_mul_f32_e32 v31, v46, v7
	v_mul_f32_e32 v7, v45, v7
	v_fmac_f32_e32 v31, v45, v6
	v_fma_f32 v6, v46, v6, -v7
	v_add_f32_e32 v7, v12, v51
	v_fma_f32 v45, -0.5, v20, v5
	v_fma_f32 v7, -0.5, v7, v4
	v_add_f32_e32 v4, v4, v12
	v_sub_f32_e32 v12, v12, v51
	v_mov_b32_e32 v25, v45
	v_fmac_f32_e32 v25, 0x3f5db3d7, v12
	v_fmac_f32_e32 v45, 0xbf5db3d7, v12
	v_add_f32_e32 v12, v14, v27
	v_add_f32_e32 v20, v12, v57
	;; [unrolled: 1-line block ×4, first 2 shown]
	v_sub_f32_e32 v13, v13, v26
	v_mov_b32_e32 v24, v7
	v_fmac_f32_e32 v14, -0.5, v12
	v_fmac_f32_e32 v24, 0xbf5db3d7, v13
	v_fmac_f32_e32 v7, 0x3f5db3d7, v13
	v_sub_f32_e32 v12, v28, v58
	v_mov_b32_e32 v13, v14
	v_fmac_f32_e32 v13, 0xbf5db3d7, v12
	v_fmac_f32_e32 v14, 0x3f5db3d7, v12
	v_add_f32_e32 v12, v15, v28
	v_add_f32_e32 v21, v12, v58
	;; [unrolled: 1-line block ×3, first 2 shown]
	v_fmac_f32_e32 v15, -0.5, v12
	v_sub_f32_e32 v12, v27, v57
	v_mov_b32_e32 v22, v15
	v_fmac_f32_e32 v22, 0x3f5db3d7, v12
	v_add_f32_e32 v5, v5, v26
	v_fmac_f32_e32 v15, 0xbf5db3d7, v12
	v_mul_f32_e32 v26, 0xbf5db3d7, v22
	v_mul_f32_e32 v28, 0.5, v22
	v_add_f32_e32 v4, v4, v51
	v_fmac_f32_e32 v26, 0.5, v13
	v_mul_f32_e32 v27, 0xbf5db3d7, v15
	v_fmac_f32_e32 v28, 0x3f5db3d7, v13
	v_add_f32_e32 v13, v5, v21
	v_sub_f32_e32 v21, v5, v21
	v_add_f32_e32 v5, v29, v61
	v_add_f32_e32 v12, v4, v20
	v_fmac_f32_e32 v27, -0.5, v14
	v_mul_f32_e32 v46, -0.5, v15
	v_sub_f32_e32 v20, v4, v20
	v_add_f32_e32 v4, v0, v29
	v_fma_f32 v0, -0.5, v5, v0
	v_fmac_f32_e32 v46, 0x3f5db3d7, v14
	v_add_f32_e32 v14, v24, v26
	v_add_f32_e32 v22, v7, v27
	;; [unrolled: 1-line block ×3, first 2 shown]
	v_sub_f32_e32 v24, v24, v26
	v_sub_f32_e32 v26, v7, v27
	;; [unrolled: 1-line block ×4, first 2 shown]
	v_mov_b32_e32 v7, v0
	v_add_f32_e32 v28, v30, v52
	v_fmac_f32_e32 v7, 0xbf5db3d7, v5
	v_fmac_f32_e32 v0, 0x3f5db3d7, v5
	v_add_f32_e32 v5, v1, v30
	v_fmac_f32_e32 v1, -0.5, v28
	v_sub_f32_e32 v28, v29, v61
	v_mov_b32_e32 v51, v1
	v_fmac_f32_e32 v51, 0x3f5db3d7, v28
	v_fmac_f32_e32 v1, 0xbf5db3d7, v28
	v_add_f32_e32 v28, v62, v53
	v_add_f32_e32 v30, v28, v31
	v_add_f32_e32 v28, v53, v31
	v_fmac_f32_e32 v62, -0.5, v28
	v_add_f32_e32 v23, v45, v46
	v_sub_f32_e32 v27, v45, v46
	v_sub_f32_e32 v28, v50, v6
	v_mov_b32_e32 v46, v62
	v_fmac_f32_e32 v46, 0xbf5db3d7, v28
	v_fmac_f32_e32 v62, 0x3f5db3d7, v28
	v_add_f32_e32 v28, v63, v50
	v_add_f32_e32 v45, v28, v6
	;; [unrolled: 1-line block ×3, first 2 shown]
	v_fmac_f32_e32 v63, -0.5, v6
	v_sub_f32_e32 v6, v53, v31
	v_mov_b32_e32 v50, v63
	v_add_f32_e32 v4, v4, v61
	v_add_f32_e32 v5, v5, v52
	v_fmac_f32_e32 v50, 0x3f5db3d7, v6
	v_fmac_f32_e32 v63, 0xbf5db3d7, v6
	v_add_f32_e32 v28, v4, v30
	v_add_f32_e32 v29, v5, v45
	v_sub_f32_e32 v30, v4, v30
	v_sub_f32_e32 v31, v5, v45
	v_mul_f32_e32 v4, 0.5, v50
	v_mul_f32_e32 v5, 0xbf5db3d7, v63
	v_mul_f32_e32 v6, 0xbf5db3d7, v50
	v_fmac_f32_e32 v4, 0x3f5db3d7, v46
	v_fmac_f32_e32 v5, -0.5, v62
	v_fmac_f32_e32 v6, 0.5, v46
	v_add_f32_e32 v46, v51, v4
	v_sub_f32_e32 v51, v51, v4
	v_add_f32_e32 v52, v0, v5
	v_mul_f32_e32 v4, -0.5, v63
	v_sub_f32_e32 v54, v0, v5
	v_add_f32_e32 v0, v19, v16
	v_fmac_f32_e32 v4, 0x3f5db3d7, v62
	v_fma_f32 v0, -0.5, v0, v43
	v_add_f32_e32 v53, v1, v4
	v_sub_f32_e32 v55, v1, v4
	v_sub_f32_e32 v4, v11, v18
	v_mov_b32_e32 v1, v0
	v_fmac_f32_e32 v1, 0xbf5db3d7, v4
	v_fmac_f32_e32 v0, 0x3f5db3d7, v4
	v_add_f32_e32 v4, v11, v18
	v_fma_f32 v4, -0.5, v4, v44
	v_add_f32_e32 v45, v7, v6
	v_sub_f32_e32 v50, v7, v6
	v_sub_f32_e32 v6, v19, v16
	v_mov_b32_e32 v5, v4
	v_fmac_f32_e32 v5, 0x3f5db3d7, v6
	v_fmac_f32_e32 v4, 0xbf5db3d7, v6
	v_mov_b32_e32 v6, 3
	v_mul_u32_u24_e32 v7, 0x90, v56
	v_lshlrev_b32_sdwa v3, v6, v3 dst_sel:DWORD dst_unused:UNUSED_PAD src0_sel:DWORD src1_sel:BYTE_0
	v_add3_u32 v56, 0, v7, v3
	v_add_f32_e32 v3, v48, v9
	v_fma_f32 v3, -0.5, v3, v10
	ds_write2_b64 v56, v[12:13], v[14:15] offset1:3
	v_sub_f32_e32 v7, v17, v2
	v_mov_b32_e32 v12, v3
	v_fmac_f32_e32 v12, 0xbf5db3d7, v7
	v_fmac_f32_e32 v3, 0x3f5db3d7, v7
	v_add_f32_e32 v7, v17, v2
	v_fma_f32 v14, -0.5, v7, v8
	v_sub_f32_e32 v7, v48, v9
	v_mov_b32_e32 v13, v14
	v_fmac_f32_e32 v13, 0x3f5db3d7, v7
	v_fmac_f32_e32 v14, 0xbf5db3d7, v7
	v_mul_f32_e32 v7, 0xbf5db3d7, v13
	v_mul_f32_e32 v13, 0.5, v13
	v_fmac_f32_e32 v7, 0.5, v12
	v_fmac_f32_e32 v13, 0x3f5db3d7, v12
	v_mul_f32_e32 v12, 0xbf5db3d7, v14
	v_mul_f32_e32 v14, -0.5, v14
	v_fmac_f32_e32 v12, -0.5, v3
	v_fmac_f32_e32 v14, 0x3f5db3d7, v3
	ds_write2_b64 v56, v[24:25], v[26:27] offset0:12 offset1:15
	v_mul_u32_u24_e32 v15, 0x90, v59
	v_lshlrev_b32_sdwa v24, v6, v60 dst_sel:DWORD dst_unused:UNUSED_PAD src0_sel:DWORD src1_sel:BYTE_0
	v_sub_u32_e32 v3, 0, v37
	ds_write2_b64 v56, v[22:23], v[20:21] offset0:6 offset1:9
	v_sub_f32_e32 v20, v1, v7
	v_sub_f32_e32 v22, v0, v12
	;; [unrolled: 1-line block ×4, first 2 shown]
	v_add3_u32 v15, 0, v15, v24
	ds_write2_b64 v15, v[28:29], v[45:46] offset1:3
	ds_write2_b64 v15, v[52:53], v[30:31] offset0:6 offset1:9
	ds_write2_b64 v15, v[50:51], v[54:55] offset0:12 offset1:15
	s_and_saveexec_b64 s[4:5], s[2:3]
	s_cbranch_execz .LBB0_19
; %bb.18:
	v_add_f32_e32 v8, v8, v17
	v_add_f32_e32 v11, v44, v11
	v_add_f32_e32 v8, v8, v2
	v_add_f32_e32 v2, v43, v19
	v_add_f32_e32 v15, v11, v18
	v_add_f32_e32 v16, v2, v16
	v_add_f32_e32 v2, v10, v48
	v_sub_f32_e32 v11, v15, v8
	v_add_f32_e32 v17, v2, v9
	v_add_f32_e32 v2, v5, v13
	;; [unrolled: 1-line block ×4, first 2 shown]
	v_mul_u32_u24_e32 v0, 0x90, v39
	v_lshlrev_b32_sdwa v6, v6, v47 dst_sel:DWORD dst_unused:UNUSED_PAD src0_sel:DWORD src1_sel:BYTE_0
	v_add_f32_e32 v9, v4, v14
	v_add_f32_e32 v1, v1, v7
	;; [unrolled: 1-line block ×3, first 2 shown]
	v_add3_u32 v0, 0, v0, v6
	v_sub_f32_e32 v10, v16, v17
	ds_write2_b64 v0, v[4:5], v[1:2] offset1:3
	ds_write2_b64 v0, v[8:9], v[10:11] offset0:6 offset1:9
	ds_write2_b64 v0, v[20:21], v[22:23] offset0:12 offset1:15
.LBB0_19:
	s_or_b64 exec, exec, s[4:5]
	v_mov_b32_e32 v0, 57
	v_mul_lo_u16_sdwa v0, v32, v0 dst_sel:DWORD dst_unused:UNUSED_PAD src0_sel:BYTE_0 src1_sel:DWORD
	v_lshrrev_b16_e32 v0, 10, v0
	v_mul_lo_u16_e32 v1, 18, v0
	v_sub_u16_e32 v1, v32, v1
	v_mov_b32_e32 v2, 15
	v_mul_u32_u24_sdwa v2, v1, v2 dst_sel:DWORD dst_unused:UNUSED_PAD src0_sel:BYTE_0 src1_sel:DWORD
	v_lshlrev_b32_e32 v2, 3, v2
	s_waitcnt lgkmcnt(0)
	; wave barrier
	s_waitcnt lgkmcnt(0)
	global_load_dwordx4 v[4:7], v2, s[8:9] offset:120
	global_load_dwordx4 v[8:11], v2, s[8:9] offset:136
	;; [unrolled: 1-line block ×7, first 2 shown]
	v_add_u32_e32 v54, v33, v3
	global_load_dwordx2 v[2:3], v2, s[8:9] offset:232
	v_lshl_add_u32 v53, v42, 3, 0
	v_lshl_add_u32 v52, v41, 3, 0
	;; [unrolled: 1-line block ×4, first 2 shown]
	ds_read_b64 v[47:48], v54
	ds_read_b64 v[55:56], v53
	;; [unrolled: 1-line block ×5, first 2 shown]
	v_mul_u32_u24_e32 v0, 0x120, v0
	v_or_b32_sdwa v0, v0, v1 dst_sel:DWORD dst_unused:UNUSED_PAD src0_sel:DWORD src1_sel:BYTE_0
	v_lshl_add_u32 v0, v0, 3, 0
	s_waitcnt vmcnt(7) lgkmcnt(4)
	v_mul_f32_e32 v33, v5, v48
	v_mul_f32_e32 v5, v5, v47
	v_fmac_f32_e32 v33, v4, v47
	v_fma_f32 v37, v4, v48, -v5
	s_waitcnt lgkmcnt(3)
	v_mul_f32_e32 v39, v7, v56
	v_mul_f32_e32 v4, v7, v55
	v_fmac_f32_e32 v39, v6, v55
	v_fma_f32 v47, v6, v56, -v4
	v_add_u32_e32 v4, 0x800, v49
	s_waitcnt vmcnt(6) lgkmcnt(2)
	v_mul_f32_e32 v48, v9, v58
	v_mul_f32_e32 v5, v9, v57
	s_waitcnt lgkmcnt(1)
	v_mul_f32_e32 v6, v11, v59
	v_fmac_f32_e32 v48, v8, v57
	v_fma_f32 v56, v8, v58, -v5
	v_fma_f32 v57, v10, v60, -v6
	ds_read2_b64 v[5:8], v4 offset0:68 offset1:122
	v_mul_f32_e32 v55, v11, v60
	v_fmac_f32_e32 v55, v10, v59
	s_waitcnt vmcnt(5) lgkmcnt(1)
	v_mul_f32_e32 v59, v62, v13
	v_mul_f32_e32 v9, v61, v13
	s_waitcnt lgkmcnt(0)
	v_mul_f32_e32 v13, v6, v15
	v_mul_f32_e32 v10, v5, v15
	v_fmac_f32_e32 v59, v61, v12
	v_fma_f32 v15, v62, v12, -v9
	v_fmac_f32_e32 v13, v5, v14
	v_fma_f32 v14, v6, v14, -v10
	ds_read2_b64 v[9:12], v4 offset0:176 offset1:230
	s_waitcnt vmcnt(4)
	v_mul_f32_e32 v60, v8, v17
	v_mul_f32_e32 v5, v7, v17
	v_add_u32_e32 v58, 0x1000, v49
	v_fmac_f32_e32 v60, v7, v16
	v_fma_f32 v16, v8, v16, -v5
	s_waitcnt lgkmcnt(0)
	v_mul_f32_e32 v17, v10, v19
	v_mul_f32_e32 v5, v9, v19
	v_fmac_f32_e32 v17, v9, v18
	v_fma_f32 v18, v10, v18, -v5
	ds_read2_b64 v[5:8], v58 offset0:28 offset1:82
	s_waitcnt vmcnt(3)
	v_mul_f32_e32 v19, v12, v25
	v_mul_f32_e32 v9, v11, v25
	v_fmac_f32_e32 v19, v11, v24
	v_fma_f32 v24, v12, v24, -v9
	s_waitcnt lgkmcnt(0)
	v_mul_f32_e32 v25, v6, v27
	v_mul_f32_e32 v9, v5, v27
	v_fmac_f32_e32 v25, v5, v26
	v_fma_f32 v26, v6, v26, -v9
	ds_read2_b64 v[9:12], v58 offset0:136 offset1:190
	s_waitcnt vmcnt(2)
	v_mul_f32_e32 v27, v8, v29
	v_mul_f32_e32 v5, v7, v29
	v_fmac_f32_e32 v27, v7, v28
	v_fma_f32 v28, v8, v28, -v5
	s_waitcnt lgkmcnt(0)
	v_mul_f32_e32 v29, v10, v31
	v_mul_f32_e32 v5, v9, v31
	v_add_u32_e32 v61, 0x1400, v49
	v_fmac_f32_e32 v29, v9, v30
	v_fma_f32 v9, v10, v30, -v5
	s_waitcnt vmcnt(1)
	v_mul_f32_e32 v5, v11, v44
	v_fma_f32 v10, v12, v43, -v5
	ds_read2_b64 v[5:8], v61 offset0:116 offset1:170
	v_mul_f32_e32 v31, v12, v44
	v_fmac_f32_e32 v31, v11, v43
	v_sub_f32_e32 v9, v57, v9
	v_sub_f32_e32 v26, v47, v26
	s_waitcnt lgkmcnt(0)
	v_mul_f32_e32 v11, v6, v46
	v_fmac_f32_e32 v11, v5, v45
	v_mul_f32_e32 v5, v5, v46
	v_fma_f32 v12, v6, v45, -v5
	ds_read_b64 v[5:6], v49
	s_waitcnt vmcnt(0)
	v_mul_f32_e32 v30, v8, v3
	v_mul_f32_e32 v3, v7, v3
	v_fmac_f32_e32 v30, v7, v2
	v_fma_f32 v2, v8, v2, -v3
	s_waitcnt lgkmcnt(0)
	v_sub_f32_e32 v7, v6, v18
	v_sub_f32_e32 v8, v55, v29
	;; [unrolled: 1-line block ×3, first 2 shown]
	v_fma_f32 v17, v55, 2.0, -v8
	v_sub_f32_e32 v11, v13, v11
	v_sub_f32_e32 v24, v37, v24
	;; [unrolled: 1-line block ×6, first 2 shown]
	v_fma_f32 v6, v6, 2.0, -v7
	v_fma_f32 v18, v57, 2.0, -v9
	v_sub_f32_e32 v25, v39, v25
	v_sub_f32_e32 v12, v14, v12
	v_fma_f32 v13, v13, 2.0, -v11
	v_sub_f32_e32 v19, v33, v19
	v_fma_f32 v37, v37, 2.0, -v24
	;; [unrolled: 2-line block ×5, first 2 shown]
	v_add_f32_e32 v9, v3, v9
	v_fma_f32 v7, v7, 2.0, -v8
	v_sub_f32_e32 v11, v26, v11
	v_fma_f32 v5, v5, 2.0, -v3
	v_fma_f32 v29, v39, 2.0, -v25
	;; [unrolled: 1-line block ×9, first 2 shown]
	v_add_f32_e32 v12, v25, v12
	v_fma_f32 v26, v26, 2.0, -v11
	v_sub_f32_e32 v15, v37, v15
	v_sub_f32_e32 v16, v45, v16
	v_mov_b32_e32 v48, v7
	v_fma_f32 v25, v25, 2.0, -v12
	v_sub_f32_e32 v43, v33, v43
	v_fma_f32 v37, v37, 2.0, -v15
	v_sub_f32_e32 v31, v24, v31
	v_sub_f32_e32 v46, v44, v46
	v_fma_f32 v45, v45, 2.0, -v16
	v_mov_b32_e32 v47, v3
	v_fmac_f32_e32 v48, 0xbf3504f3, v26
	v_fma_f32 v33, v33, 2.0, -v43
	v_add_f32_e32 v10, v19, v10
	v_fma_f32 v24, v24, 2.0, -v31
	v_fma_f32 v44, v44, 2.0, -v46
	v_sub_f32_e32 v30, v28, v30
	v_fmac_f32_e32 v47, 0xbf3504f3, v25
	v_fmac_f32_e32 v48, 0xbf3504f3, v25
	v_sub_f32_e32 v45, v37, v45
	v_sub_f32_e32 v17, v5, v17
	;; [unrolled: 1-line block ×5, first 2 shown]
	v_fma_f32 v19, v19, 2.0, -v10
	v_add_f32_e32 v2, v27, v2
	v_fma_f32 v28, v28, 2.0, -v30
	v_fmac_f32_e32 v47, 0x3f3504f3, v26
	v_fma_f32 v26, v7, 2.0, -v48
	v_mov_b32_e32 v59, v8
	v_sub_f32_e32 v44, v33, v44
	v_fma_f32 v7, v37, 2.0, -v45
	v_mov_b32_e32 v37, v24
	v_fma_f32 v5, v5, 2.0, -v17
	v_fma_f32 v6, v6, 2.0, -v18
	v_fma_f32 v29, v29, 2.0, -v13
	v_fma_f32 v39, v39, 2.0, -v14
	v_fma_f32 v27, v27, 2.0, -v2
	v_fma_f32 v25, v3, 2.0, -v47
	v_mov_b32_e32 v57, v9
	v_fmac_f32_e32 v59, 0x3f3504f3, v11
	v_fma_f32 v3, v33, 2.0, -v44
	v_mov_b32_e32 v33, v19
	v_fmac_f32_e32 v37, 0xbf3504f3, v28
	v_sub_f32_e32 v29, v5, v29
	v_sub_f32_e32 v39, v6, v39
	;; [unrolled: 1-line block ×3, first 2 shown]
	v_fmac_f32_e32 v57, 0x3f3504f3, v12
	v_fmac_f32_e32 v59, 0xbf3504f3, v12
	;; [unrolled: 1-line block ×4, first 2 shown]
	v_mov_b32_e32 v62, v31
	v_fma_f32 v5, v5, 2.0, -v29
	v_fma_f32 v6, v6, 2.0, -v39
	v_add_f32_e32 v55, v17, v14
	v_fma_f32 v14, v18, 2.0, -v56
	v_fmac_f32_e32 v57, 0x3f3504f3, v11
	v_fma_f32 v18, v8, 2.0, -v59
	v_fmac_f32_e32 v33, 0x3f3504f3, v28
	v_fma_f32 v11, v24, 2.0, -v37
	v_mov_b32_e32 v60, v10
	v_fmac_f32_e32 v62, 0x3f3504f3, v30
	v_mov_b32_e32 v8, v26
	v_fma_f32 v13, v17, 2.0, -v55
	v_fma_f32 v17, v9, 2.0, -v57
	;; [unrolled: 1-line block ×3, first 2 shown]
	v_fmac_f32_e32 v60, 0x3f3504f3, v2
	v_fmac_f32_e32 v62, 0xbf3504f3, v2
	v_sub_f32_e32 v2, v5, v3
	v_sub_f32_e32 v3, v6, v7
	v_mov_b32_e32 v7, v25
	v_fmac_f32_e32 v8, 0xbf6c835e, v11
	v_add_f32_e32 v19, v43, v16
	v_sub_f32_e32 v24, v15, v46
	v_fmac_f32_e32 v60, 0x3f3504f3, v30
	v_fmac_f32_e32 v7, 0xbf6c835e, v9
	;; [unrolled: 1-line block ×3, first 2 shown]
	v_fma_f32 v16, v43, 2.0, -v19
	v_fma_f32 v15, v15, 2.0, -v24
	;; [unrolled: 1-line block ×3, first 2 shown]
	v_fmac_f32_e32 v7, 0x3ec3ef15, v11
	v_fma_f32 v10, v26, 2.0, -v8
	v_mov_b32_e32 v11, v13
	v_mov_b32_e32 v12, v14
	v_add_f32_e32 v26, v29, v45
	v_mov_b32_e32 v45, v55
	v_fmac_f32_e32 v11, 0xbf3504f3, v16
	v_fmac_f32_e32 v12, 0xbf3504f3, v15
	;; [unrolled: 1-line block ×3, first 2 shown]
	v_mov_b32_e32 v46, v56
	v_fma_f32 v28, v31, 2.0, -v62
	v_fma_f32 v9, v25, 2.0, -v7
	v_fmac_f32_e32 v11, 0x3f3504f3, v15
	v_fmac_f32_e32 v12, 0xbf3504f3, v16
	v_mov_b32_e32 v15, v17
	v_mov_b32_e32 v16, v18
	;; [unrolled: 1-line block ×4, first 2 shown]
	v_fmac_f32_e32 v46, 0x3f3504f3, v24
	v_fmac_f32_e32 v45, 0x3f3504f3, v24
	v_mov_b32_e32 v24, v57
	v_mov_b32_e32 v25, v59
	v_fmac_f32_e32 v15, 0xbec3ef15, v27
	v_fmac_f32_e32 v16, 0xbec3ef15, v28
	;; [unrolled: 1-line block ×6, first 2 shown]
	v_fma_f32 v5, v5, 2.0, -v2
	v_fma_f32 v6, v6, 2.0, -v3
	v_fmac_f32_e32 v15, 0x3f6c835e, v28
	v_fmac_f32_e32 v16, 0xbf6c835e, v27
	v_sub_f32_e32 v27, v39, v44
	v_fmac_f32_e32 v30, 0x3f6c835e, v37
	v_fmac_f32_e32 v31, 0xbf6c835e, v33
	;; [unrolled: 1-line block ×5, first 2 shown]
	v_fma_f32 v13, v13, 2.0, -v11
	v_fma_f32 v14, v14, 2.0, -v12
	;; [unrolled: 1-line block ×12, first 2 shown]
	s_waitcnt lgkmcnt(0)
	; wave barrier
	ds_write2_b64 v0, v[5:6], v[9:10] offset1:18
	ds_write2_b64 v0, v[13:14], v[17:18] offset0:36 offset1:54
	ds_write2_b64 v0, v[28:29], v[43:44] offset0:72 offset1:90
	;; [unrolled: 1-line block ×6, first 2 shown]
	v_add_u32_e32 v0, 0x400, v0
	ds_write2_b64 v0, v[45:46], v[24:25] offset0:124 offset1:142
	v_add_u32_e32 v0, 0xc00, v49
	s_waitcnt lgkmcnt(0)
	; wave barrier
	s_waitcnt lgkmcnt(0)
	ds_read_b64 v[43:44], v49
	ds_read2_b64 v[16:19], v4 offset0:32 offset1:86
	ds_read2_b64 v[0:3], v0 offset0:120 offset1:192
	;; [unrolled: 1-line block ×4, first 2 shown]
	ds_read_b64 v[30:31], v53
	ds_read_b64 v[28:29], v52
	ds_read2_b64 v[4:7], v61 offset0:98 offset1:152
	ds_read_b64 v[47:48], v54
	ds_read_b64 v[26:27], v51
	s_and_saveexec_b64 s[2:3], vcc
	s_cbranch_execz .LBB0_21
; %bb.20:
	ds_read_b64 v[24:25], v50
	ds_read_b64 v[20:21], v49 offset:4464
	ds_read_b64 v[22:23], v49 offset:6768
.LBB0_21:
	s_or_b64 exec, exec, s[2:3]
	v_lshlrev_b32_e32 v45, 1, v32
	v_mov_b32_e32 v46, 0
	v_lshlrev_b64 v[55:56], 3, v[45:46]
	v_mov_b32_e32 v33, s9
	v_add_co_u32_e64 v55, s[2:3], s8, v55
	v_addc_co_u32_e64 v56, s[2:3], v33, v56, s[2:3]
	v_lshlrev_b32_e32 v45, 1, v36
	global_load_dwordx4 v[55:58], v[55:56], off offset:2280
	v_lshlrev_b64 v[59:60], 3, v[45:46]
	v_lshlrev_b32_e32 v45, 1, v42
	v_add_co_u32_e64 v59, s[2:3], s8, v59
	v_addc_co_u32_e64 v60, s[2:3], v33, v60, s[2:3]
	global_load_dwordx4 v[59:62], v[59:60], off offset:2280
	s_waitcnt vmcnt(1) lgkmcnt(8)
	v_mul_f32_e32 v37, v56, v17
	v_mul_f32_e32 v39, v56, v16
	s_waitcnt lgkmcnt(7)
	v_mul_f32_e32 v63, v58, v3
	v_mul_f32_e32 v56, v58, v2
	v_fmac_f32_e32 v63, v57, v2
	v_fma_f32 v64, v57, v3, -v56
	v_lshlrev_b64 v[2:3], 3, v[45:46]
	v_fmac_f32_e32 v37, v55, v16
	v_add_co_u32_e64 v2, s[2:3], s8, v2
	v_addc_co_u32_e64 v3, s[2:3], v33, v3, s[2:3]
	s_waitcnt vmcnt(0)
	v_mul_f32_e32 v65, v60, v19
	v_mul_f32_e32 v16, v60, v18
	v_fma_f32 v39, v55, v17, -v39
	v_fmac_f32_e32 v65, v59, v18
	v_fma_f32 v59, v59, v19, -v16
	global_load_dwordx4 v[16:19], v[2:3], off offset:2280
	v_lshlrev_b32_e32 v45, 1, v41
	s_waitcnt lgkmcnt(6)
	v_mul_f32_e32 v60, v62, v13
	v_mul_f32_e32 v2, v62, v12
	v_fmac_f32_e32 v60, v61, v12
	v_fma_f32 v12, v61, v13, -v2
	v_lshlrev_b64 v[2:3], 3, v[45:46]
	v_lshlrev_b32_e32 v45, 1, v38
	v_add_co_u32_e64 v2, s[2:3], s8, v2
	v_addc_co_u32_e64 v3, s[2:3], v33, v3, s[2:3]
	global_load_dwordx4 v[55:58], v[2:3], off offset:2280
	s_waitcnt vmcnt(1)
	v_mul_f32_e32 v13, v19, v15
	v_mul_f32_e32 v2, v19, v14
	v_fmac_f32_e32 v13, v18, v14
	v_fma_f32 v14, v18, v15, -v2
	s_waitcnt lgkmcnt(5)
	v_mul_f32_e32 v15, v17, v9
	v_mul_f32_e32 v2, v17, v8
	v_fmac_f32_e32 v15, v16, v8
	v_fma_f32 v16, v16, v9, -v2
	v_lshlrev_b64 v[2:3], 3, v[45:46]
	v_sub_f32_e32 v19, v39, v64
	v_add_co_u32_e64 v2, s[2:3], s8, v2
	v_addc_co_u32_e64 v3, s[2:3], v33, v3, s[2:3]
	s_waitcnt vmcnt(0)
	v_mul_f32_e32 v17, v56, v11
	v_mul_f32_e32 v8, v56, v10
	v_fmac_f32_e32 v17, v55, v10
	v_fma_f32 v18, v55, v11, -v8
	global_load_dwordx4 v[8:11], v[2:3], off offset:2280
	v_add_f32_e32 v3, v44, v39
	v_add_f32_e32 v33, v39, v64
	;; [unrolled: 1-line block ×4, first 2 shown]
	v_fma_f32 v43, -0.5, v39, v43
	s_waitcnt lgkmcnt(2)
	v_mul_f32_e32 v39, v4, v58
	v_mul_f32_e32 v45, v5, v58
	v_fmac_f32_e32 v44, -0.5, v33
	v_fma_f32 v33, v5, v57, -v39
	v_fmac_f32_e32 v45, v4, v57
	v_add_f32_e32 v3, v3, v64
	v_add_f32_e32 v2, v2, v63
	v_sub_f32_e32 v37, v37, v63
	s_waitcnt lgkmcnt(0)
	; wave barrier
	s_waitcnt vmcnt(0) lgkmcnt(0)
	v_mul_f32_e32 v5, v6, v11
	v_mul_f32_e32 v4, v0, v9
	v_fma_f32 v57, v7, v10, -v5
	v_add_f32_e32 v5, v65, v60
	v_mul_f32_e32 v55, v7, v11
	v_fma_f32 v56, v1, v8, -v4
	v_add_f32_e32 v4, v47, v65
	v_fma_f32 v47, -0.5, v5, v47
	v_fmac_f32_e32 v55, v6, v10
	v_sub_f32_e32 v5, v59, v12
	v_mov_b32_e32 v6, v47
	v_add_f32_e32 v7, v59, v12
	v_mul_f32_e32 v39, v1, v9
	v_fmac_f32_e32 v6, 0xbf5db3d7, v5
	v_fmac_f32_e32 v47, 0x3f5db3d7, v5
	v_add_f32_e32 v5, v48, v59
	v_fmac_f32_e32 v48, -0.5, v7
	v_fmac_f32_e32 v39, v0, v8
	v_sub_f32_e32 v8, v65, v60
	v_mov_b32_e32 v7, v48
	v_add_f32_e32 v9, v15, v13
	v_fmac_f32_e32 v7, 0x3f5db3d7, v8
	v_fmac_f32_e32 v48, 0xbf5db3d7, v8
	v_add_f32_e32 v8, v30, v15
	v_fma_f32 v30, -0.5, v9, v30
	v_sub_f32_e32 v9, v16, v14
	v_mov_b32_e32 v10, v30
	v_add_f32_e32 v11, v16, v14
	v_fmac_f32_e32 v10, 0xbf5db3d7, v9
	v_fmac_f32_e32 v30, 0x3f5db3d7, v9
	v_add_f32_e32 v9, v31, v16
	v_fmac_f32_e32 v31, -0.5, v11
	v_add_f32_e32 v5, v5, v12
	v_add_f32_e32 v8, v8, v13
	v_sub_f32_e32 v12, v15, v13
	v_mov_b32_e32 v11, v31
	v_add_f32_e32 v13, v17, v45
	v_fmac_f32_e32 v11, 0x3f5db3d7, v12
	v_fmac_f32_e32 v31, 0xbf5db3d7, v12
	v_add_f32_e32 v12, v28, v17
	v_fma_f32 v28, -0.5, v13, v28
	v_add_f32_e32 v9, v9, v14
	v_sub_f32_e32 v13, v18, v33
	v_mov_b32_e32 v14, v28
	v_add_f32_e32 v15, v18, v33
	v_fmac_f32_e32 v14, 0xbf5db3d7, v13
	v_fmac_f32_e32 v28, 0x3f5db3d7, v13
	v_add_f32_e32 v13, v29, v18
	v_fmac_f32_e32 v29, -0.5, v15
	v_sub_f32_e32 v16, v17, v45
	v_mov_b32_e32 v15, v29
	v_add_f32_e32 v17, v39, v55
	v_mov_b32_e32 v0, v43
	v_fmac_f32_e32 v15, 0x3f5db3d7, v16
	v_fmac_f32_e32 v29, 0xbf5db3d7, v16
	v_add_f32_e32 v16, v26, v39
	v_fma_f32 v26, -0.5, v17, v26
	v_fmac_f32_e32 v43, 0x3f5db3d7, v19
	v_fmac_f32_e32 v0, 0xbf5db3d7, v19
	v_sub_f32_e32 v17, v56, v57
	v_mov_b32_e32 v18, v26
	v_add_f32_e32 v19, v56, v57
	v_fmac_f32_e32 v18, 0xbf5db3d7, v17
	v_fmac_f32_e32 v26, 0x3f5db3d7, v17
	v_add_f32_e32 v17, v27, v56
	v_fmac_f32_e32 v27, -0.5, v19
	v_mov_b32_e32 v1, v44
	v_add_f32_e32 v13, v13, v33
	v_sub_f32_e32 v33, v39, v55
	v_mov_b32_e32 v19, v27
	v_fmac_f32_e32 v1, 0x3f5db3d7, v37
	v_fmac_f32_e32 v44, 0xbf5db3d7, v37
	v_add_f32_e32 v4, v4, v60
	v_add_f32_e32 v12, v12, v45
	;; [unrolled: 1-line block ×4, first 2 shown]
	v_fmac_f32_e32 v19, 0x3f5db3d7, v33
	v_fmac_f32_e32 v27, 0xbf5db3d7, v33
	ds_write_b64 v49, v[2:3]
	ds_write_b64 v49, v[0:1] offset:2304
	ds_write_b64 v49, v[43:44] offset:4608
	ds_write_b64 v54, v[4:5]
	ds_write_b64 v54, v[6:7] offset:2304
	ds_write_b64 v54, v[47:48] offset:4608
	;; [unrolled: 3-line block ×5, first 2 shown]
	s_and_saveexec_b64 s[2:3], vcc
	s_cbranch_execz .LBB0_23
; %bb.22:
	v_subrev_u32_e32 v0, 18, v32
	v_cndmask_b32_e32 v0, v0, v40, vcc
	v_lshlrev_b32_e32 v45, 1, v0
	v_lshlrev_b64 v[0:1], 3, v[45:46]
	v_mov_b32_e32 v2, s9
	v_add_co_u32_e32 v0, vcc, s8, v0
	v_addc_co_u32_e32 v1, vcc, v2, v1, vcc
	global_load_dwordx4 v[0:3], v[0:1], off offset:2280
	s_waitcnt vmcnt(0)
	v_mul_f32_e32 v4, v20, v1
	v_mul_f32_e32 v5, v22, v3
	;; [unrolled: 1-line block ×4, first 2 shown]
	v_fma_f32 v3, v21, v0, -v4
	v_fma_f32 v4, v23, v2, -v5
	v_fmac_f32_e32 v1, v20, v0
	v_fmac_f32_e32 v6, v22, v2
	v_add_f32_e32 v0, v3, v4
	v_add_f32_e32 v5, v1, v6
	v_sub_f32_e32 v7, v1, v6
	v_add_f32_e32 v2, v25, v3
	v_sub_f32_e32 v8, v3, v4
	v_add_f32_e32 v9, v24, v1
	v_fma_f32 v1, -0.5, v0, v25
	v_fma_f32 v0, -0.5, v5, v24
	v_add_f32_e32 v3, v2, v4
	v_add_f32_e32 v2, v9, v6
	v_mov_b32_e32 v5, v1
	v_fmac_f32_e32 v1, 0x3f5db3d7, v7
	v_mov_b32_e32 v4, v0
	v_fmac_f32_e32 v0, 0xbf5db3d7, v8
	ds_write_b64 v49, v[2:3] offset:2160
	v_fmac_f32_e32 v5, 0xbf5db3d7, v7
	v_fmac_f32_e32 v4, 0x3f5db3d7, v8
	ds_write_b64 v49, v[0:1] offset:4464
	ds_write_b64 v49, v[4:5] offset:6768
.LBB0_23:
	s_or_b64 exec, exec, s[2:3]
	s_waitcnt lgkmcnt(0)
	; wave barrier
	s_waitcnt lgkmcnt(0)
	ds_read_b64 v[4:5], v49
	s_add_u32 s4, s8, 0x1ae8
	v_lshlrev_b32_e32 v0, 3, v32
	s_addc_u32 s5, s9, 0
	v_sub_u32_e32 v6, 0, v0
	v_cmp_ne_u32_e32 vcc, 0, v32
                                        ; implicit-def: $vgpr2
                                        ; implicit-def: $vgpr7
                                        ; implicit-def: $vgpr8
                                        ; implicit-def: $vgpr0_vgpr1
	s_and_saveexec_b64 s[2:3], vcc
	s_xor_b64 s[2:3], exec, s[2:3]
	s_cbranch_execz .LBB0_25
; %bb.24:
	v_mov_b32_e32 v33, 0
	v_lshlrev_b64 v[0:1], 3, v[32:33]
	v_mov_b32_e32 v2, s5
	v_add_co_u32_e32 v0, vcc, s4, v0
	v_addc_co_u32_e32 v1, vcc, v2, v1, vcc
	global_load_dwordx2 v[0:1], v[0:1], off
	ds_read_b64 v[2:3], v6 offset:6912
	s_waitcnt lgkmcnt(0)
	v_add_f32_e32 v9, v2, v4
	v_sub_f32_e32 v2, v4, v2
	v_add_f32_e32 v7, v3, v5
	v_sub_f32_e32 v3, v5, v3
	v_mul_f32_e32 v2, 0.5, v2
	v_mul_f32_e32 v4, 0.5, v7
	;; [unrolled: 1-line block ×3, first 2 shown]
	s_waitcnt vmcnt(0)
	v_mul_f32_e32 v5, v1, v2
	v_fma_f32 v8, v4, v1, v3
	v_fma_f32 v1, v4, v1, -v3
	v_fma_f32 v7, 0.5, v9, v5
	v_fma_f32 v5, v9, 0.5, -v5
	v_fma_f32 v8, -v0, v2, v8
	v_fma_f32 v3, -v0, v2, v1
	v_fmac_f32_e32 v7, v0, v4
	v_fma_f32 v2, -v0, v4, v5
	v_mov_b32_e32 v0, v32
	v_mov_b32_e32 v1, v33
                                        ; implicit-def: $vgpr4_vgpr5
.LBB0_25:
	s_andn2_saveexec_b64 s[2:3], s[2:3]
	s_cbranch_execz .LBB0_27
; %bb.26:
	v_mov_b32_e32 v8, 0
	ds_read_b32 v3, v8 offset:3460
	v_mov_b32_e32 v0, 0
	s_waitcnt lgkmcnt(1)
	v_add_f32_e32 v7, v4, v5
	v_sub_f32_e32 v2, v4, v5
	v_mov_b32_e32 v1, 0
	s_waitcnt lgkmcnt(0)
	v_xor_b32_e32 v3, 0x80000000, v3
	ds_write_b32 v8, v3 offset:3460
	v_mov_b32_e32 v3, 0
.LBB0_27:
	s_or_b64 exec, exec, s[2:3]
	v_mov_b32_e32 v37, 0
	s_waitcnt lgkmcnt(0)
	v_lshlrev_b64 v[4:5], 3, v[36:37]
	v_mov_b32_e32 v9, s5
	v_add_co_u32_e32 v4, vcc, s4, v4
	v_addc_co_u32_e32 v5, vcc, v9, v5, vcc
	global_load_dwordx2 v[4:5], v[4:5], off
	v_mov_b32_e32 v43, v37
	v_lshlrev_b64 v[9:10], 3, v[42:43]
	v_mov_b32_e32 v11, s5
	v_add_co_u32_e32 v9, vcc, s4, v9
	v_addc_co_u32_e32 v10, vcc, v11, v10, vcc
	global_load_dwordx2 v[9:10], v[9:10], off
	v_mov_b32_e32 v42, v37
	;; [unrolled: 6-line block ×3, first 2 shown]
	v_lshlrev_b64 v[13:14], 3, v[38:39]
	v_mov_b32_e32 v17, s5
	v_add_co_u32_e32 v13, vcc, s4, v13
	ds_write2_b32 v49, v7, v8 offset1:1
	ds_write_b64 v6, v[2:3] offset:6912
	v_addc_co_u32_e32 v14, vcc, v17, v14, vcc
	ds_read_b64 v[2:3], v54
	ds_read_b64 v[7:8], v6 offset:6480
	global_load_dwordx2 v[13:14], v[13:14], off
	v_mov_b32_e32 v41, v37
	v_lshlrev_b64 v[15:16], 3, v[40:41]
	v_mov_b32_e32 v18, s5
	s_waitcnt lgkmcnt(0)
	v_add_f32_e32 v17, v2, v7
	v_sub_f32_e32 v2, v2, v7
	v_add_f32_e32 v20, v3, v8
	v_sub_f32_e32 v3, v3, v8
	v_mul_f32_e32 v2, 0.5, v2
	v_mul_f32_e32 v7, 0.5, v20
	;; [unrolled: 1-line block ×3, first 2 shown]
	v_lshlrev_b64 v[0:1], 3, v[0:1]
	v_mov_b32_e32 v19, s5
	s_waitcnt vmcnt(3)
	v_mul_f32_e32 v8, v5, v2
	v_fma_f32 v20, v7, v5, v3
	v_fma_f32 v3, v7, v5, -v3
	v_fma_f32 v5, 0.5, v17, v8
	v_fma_f32 v8, v17, 0.5, -v8
	v_fma_f32 v20, -v4, v2, v20
	v_fma_f32 v2, -v4, v2, v3
	v_fmac_f32_e32 v5, v4, v7
	v_fma_f32 v3, -v4, v7, v8
	v_add_co_u32_e32 v7, vcc, s4, v15
	ds_write_b32 v54, v20 offset:4
	ds_write_b32 v6, v2 offset:6484
	ds_write_b32 v54, v5
	ds_write_b32 v6, v3 offset:6480
	v_addc_co_u32_e32 v8, vcc, v18, v16, vcc
	ds_read_b64 v[2:3], v53
	ds_read_b64 v[4:5], v6 offset:6048
	global_load_dwordx2 v[7:8], v[7:8], off
	s_waitcnt lgkmcnt(0)
	v_add_f32_e32 v15, v2, v4
	v_sub_f32_e32 v2, v2, v4
	v_add_f32_e32 v16, v3, v5
	v_sub_f32_e32 v3, v3, v5
	v_mul_f32_e32 v2, 0.5, v2
	v_mul_f32_e32 v4, 0.5, v16
	;; [unrolled: 1-line block ×3, first 2 shown]
	s_waitcnt vmcnt(3)
	v_mul_f32_e32 v5, v10, v2
	v_fma_f32 v16, v4, v10, v3
	v_fma_f32 v3, v4, v10, -v3
	v_fma_f32 v10, 0.5, v15, v5
	v_fma_f32 v5, v15, 0.5, -v5
	v_fma_f32 v16, -v9, v2, v16
	v_fma_f32 v3, -v9, v2, v3
	v_fmac_f32_e32 v10, v9, v4
	v_fma_f32 v2, -v9, v4, v5
	v_add_co_u32_e32 v9, vcc, s4, v0
	ds_write2_b32 v53, v10, v16 offset1:1
	ds_write_b64 v6, v[2:3] offset:6048
	v_addc_co_u32_e32 v10, vcc, v19, v1, vcc
	ds_read_b64 v[2:3], v52
	ds_read_b64 v[4:5], v6 offset:5616
	global_load_dwordx2 v[15:16], v[9:10], off offset:2592
	s_waitcnt lgkmcnt(0)
	v_add_f32_e32 v17, v2, v4
	v_sub_f32_e32 v2, v2, v4
	v_add_f32_e32 v18, v3, v5
	v_sub_f32_e32 v3, v3, v5
	v_mul_f32_e32 v2, 0.5, v2
	v_mul_f32_e32 v4, 0.5, v18
	;; [unrolled: 1-line block ×3, first 2 shown]
	s_waitcnt vmcnt(3)
	v_mul_f32_e32 v5, v12, v2
	v_fma_f32 v18, v4, v12, v3
	v_fma_f32 v3, v4, v12, -v3
	v_fma_f32 v12, 0.5, v17, v5
	v_fma_f32 v18, -v11, v2, v18
	v_fma_f32 v5, v17, 0.5, -v5
	v_fmac_f32_e32 v12, v11, v4
	v_fma_f32 v3, -v11, v2, v3
	v_fma_f32 v2, -v11, v4, v5
	ds_write2_b32 v52, v12, v18 offset1:1
	ds_write_b64 v6, v[2:3] offset:5616
	ds_read_b64 v[2:3], v51
	ds_read_b64 v[4:5], v6 offset:5184
	global_load_dwordx2 v[9:10], v[9:10], off offset:3024
	s_waitcnt lgkmcnt(0)
	v_add_f32_e32 v11, v2, v4
	v_sub_f32_e32 v2, v2, v4
	v_add_f32_e32 v12, v3, v5
	v_sub_f32_e32 v3, v3, v5
	v_mul_f32_e32 v4, 0.5, v2
	v_mul_f32_e32 v12, 0.5, v12
	;; [unrolled: 1-line block ×3, first 2 shown]
	s_waitcnt vmcnt(3)
	v_mul_f32_e32 v2, v14, v4
	v_fma_f32 v5, 0.5, v11, v2
	v_fma_f32 v17, v12, v14, v3
	v_fmac_f32_e32 v5, v13, v12
	v_fma_f32 v17, -v13, v4, v17
	v_fma_f32 v2, v11, 0.5, -v2
	v_fma_f32 v3, v12, v14, -v3
	v_fma_f32 v2, -v13, v12, v2
	v_fma_f32 v3, -v13, v4, v3
	ds_write2_b32 v51, v5, v17 offset1:1
	ds_write_b64 v6, v[2:3] offset:5184
	ds_read_b64 v[2:3], v50
	ds_read_b64 v[4:5], v6 offset:4752
	s_waitcnt lgkmcnt(0)
	v_add_f32_e32 v11, v2, v4
	v_sub_f32_e32 v2, v2, v4
	v_add_f32_e32 v12, v3, v5
	v_sub_f32_e32 v3, v3, v5
	v_mul_f32_e32 v4, 0.5, v2
	v_mul_f32_e32 v12, 0.5, v12
	;; [unrolled: 1-line block ×3, first 2 shown]
	s_waitcnt vmcnt(2)
	v_mul_f32_e32 v2, v8, v4
	v_fma_f32 v5, 0.5, v11, v2
	v_fma_f32 v13, v12, v8, v3
	v_fmac_f32_e32 v5, v7, v12
	v_fma_f32 v13, -v7, v4, v13
	v_fma_f32 v2, v11, 0.5, -v2
	v_fma_f32 v3, v12, v8, -v3
	v_fma_f32 v2, -v7, v12, v2
	v_fma_f32 v3, -v7, v4, v3
	ds_write2_b32 v50, v5, v13 offset1:1
	ds_write_b64 v6, v[2:3] offset:4752
	ds_read_b64 v[2:3], v49 offset:2592
	ds_read_b64 v[4:5], v6 offset:4320
	s_waitcnt lgkmcnt(0)
	v_add_f32_e32 v7, v2, v4
	v_sub_f32_e32 v2, v2, v4
	v_add_f32_e32 v8, v3, v5
	v_sub_f32_e32 v3, v3, v5
	v_mul_f32_e32 v2, 0.5, v2
	v_mul_f32_e32 v8, 0.5, v8
	;; [unrolled: 1-line block ×3, first 2 shown]
	s_waitcnt vmcnt(1)
	v_mul_f32_e32 v4, v16, v2
	v_fma_f32 v11, 0.5, v7, v4
	v_fma_f32 v5, v8, v16, v3
	v_fma_f32 v3, v8, v16, -v3
	v_fmac_f32_e32 v11, v15, v8
	v_fma_f32 v12, -v15, v2, v5
	v_fma_f32 v4, v7, 0.5, -v4
	v_fma_f32 v5, -v15, v2, v3
	v_add_u32_e32 v3, 0x800, v49
	v_fma_f32 v4, -v15, v8, v4
	ds_write2_b32 v3, v11, v12 offset0:136 offset1:137
	ds_write_b64 v6, v[4:5] offset:4320
	ds_read_b64 v[4:5], v49 offset:3024
	ds_read_b64 v[7:8], v6 offset:3888
	s_waitcnt lgkmcnt(0)
	v_add_f32_e32 v2, v4, v7
	v_sub_f32_e32 v4, v4, v7
	v_add_f32_e32 v11, v5, v8
	v_sub_f32_e32 v5, v5, v8
	v_mul_f32_e32 v7, 0.5, v4
	v_mul_f32_e32 v11, 0.5, v11
	;; [unrolled: 1-line block ×3, first 2 shown]
	s_waitcnt vmcnt(0)
	v_mul_f32_e32 v4, v10, v7
	v_fma_f32 v8, 0.5, v2, v4
	v_fma_f32 v12, v11, v10, v5
	v_fma_f32 v2, v2, 0.5, -v4
	v_fmac_f32_e32 v8, v9, v11
	v_fma_f32 v12, -v9, v7, v12
	v_fma_f32 v4, -v9, v11, v2
	v_fma_f32 v2, v11, v10, -v5
	v_fma_f32 v5, -v9, v7, v2
	ds_write2_b32 v3, v8, v12 offset0:244 offset1:245
	ds_write_b64 v6, v[4:5] offset:3888
	s_waitcnt lgkmcnt(0)
	; wave barrier
	s_waitcnt lgkmcnt(0)
	s_and_saveexec_b64 s[2:3], s[0:1]
	s_cbranch_execz .LBB0_30
; %bb.28:
	ds_read2_b64 v[5:8], v49 offset1:54
	v_mov_b32_e32 v2, s13
	v_add_co_u32_e32 v4, vcc, s12, v34
	v_addc_co_u32_e32 v2, vcc, v2, v35, vcc
	v_add_co_u32_e32 v0, vcc, v4, v0
	v_addc_co_u32_e32 v1, vcc, v2, v1, vcc
	ds_read2_b64 v[9:12], v49 offset0:108 offset1:162
	s_waitcnt lgkmcnt(1)
	global_store_dwordx2 v[0:1], v[5:6], off
	global_store_dwordx2 v[0:1], v[7:8], off offset:432
	v_add_u32_e32 v5, 0x400, v49
	ds_read2_b64 v[5:8], v5 offset0:88 offset1:142
	ds_read2_b64 v[13:16], v3 offset0:68 offset1:122
	s_waitcnt lgkmcnt(2)
	global_store_dwordx2 v[0:1], v[9:10], off offset:864
	global_store_dwordx2 v[0:1], v[11:12], off offset:1296
	ds_read2_b64 v[9:12], v3 offset0:176 offset1:230
	s_waitcnt lgkmcnt(2)
	global_store_dwordx2 v[0:1], v[5:6], off offset:1728
	global_store_dwordx2 v[0:1], v[7:8], off offset:2160
	s_waitcnt lgkmcnt(1)
	global_store_dwordx2 v[0:1], v[13:14], off offset:2592
	global_store_dwordx2 v[0:1], v[15:16], off offset:3024
	;; [unrolled: 3-line block ×3, first 2 shown]
	v_add_u32_e32 v3, 0x1000, v49
	ds_read2_b64 v[5:8], v3 offset0:28 offset1:82
	s_movk_i32 s0, 0x1000
	v_add_co_u32_e32 v0, vcc, s0, v0
	ds_read2_b64 v[9:12], v3 offset0:136 offset1:190
	v_addc_co_u32_e32 v1, vcc, 0, v1, vcc
	v_add_u32_e32 v3, 0x1400, v49
	ds_read2_b64 v[13:16], v3 offset0:116 offset1:170
	v_cmp_eq_u32_e32 vcc, 53, v32
	s_waitcnt lgkmcnt(2)
	global_store_dwordx2 v[0:1], v[5:6], off offset:224
	global_store_dwordx2 v[0:1], v[7:8], off offset:656
	s_waitcnt lgkmcnt(1)
	global_store_dwordx2 v[0:1], v[9:10], off offset:1088
	global_store_dwordx2 v[0:1], v[11:12], off offset:1520
	;; [unrolled: 3-line block ×3, first 2 shown]
	s_and_b64 exec, exec, vcc
	s_cbranch_execz .LBB0_30
; %bb.29:
	v_mov_b32_e32 v0, 0
	ds_read_b64 v[0:1], v0 offset:6912
	v_add_co_u32_e32 v3, vcc, 0x1000, v4
	v_addc_co_u32_e32 v4, vcc, 0, v2, vcc
	s_waitcnt lgkmcnt(0)
	global_store_dwordx2 v[3:4], v[0:1], off offset:2816
.LBB0_30:
	s_endpgm
	.section	.rodata,"a",@progbits
	.p2align	6, 0x0
	.amdhsa_kernel fft_rtc_back_len864_factors_3_6_16_3_wgs_54_tpt_54_halfLds_sp_ip_CI_unitstride_sbrr_R2C_dirReg
		.amdhsa_group_segment_fixed_size 0
		.amdhsa_private_segment_fixed_size 0
		.amdhsa_kernarg_size 88
		.amdhsa_user_sgpr_count 6
		.amdhsa_user_sgpr_private_segment_buffer 1
		.amdhsa_user_sgpr_dispatch_ptr 0
		.amdhsa_user_sgpr_queue_ptr 0
		.amdhsa_user_sgpr_kernarg_segment_ptr 1
		.amdhsa_user_sgpr_dispatch_id 0
		.amdhsa_user_sgpr_flat_scratch_init 0
		.amdhsa_user_sgpr_private_segment_size 0
		.amdhsa_uses_dynamic_stack 0
		.amdhsa_system_sgpr_private_segment_wavefront_offset 0
		.amdhsa_system_sgpr_workgroup_id_x 1
		.amdhsa_system_sgpr_workgroup_id_y 0
		.amdhsa_system_sgpr_workgroup_id_z 0
		.amdhsa_system_sgpr_workgroup_info 0
		.amdhsa_system_vgpr_workitem_id 0
		.amdhsa_next_free_vgpr 70
		.amdhsa_next_free_sgpr 22
		.amdhsa_reserve_vcc 1
		.amdhsa_reserve_flat_scratch 0
		.amdhsa_float_round_mode_32 0
		.amdhsa_float_round_mode_16_64 0
		.amdhsa_float_denorm_mode_32 3
		.amdhsa_float_denorm_mode_16_64 3
		.amdhsa_dx10_clamp 1
		.amdhsa_ieee_mode 1
		.amdhsa_fp16_overflow 0
		.amdhsa_exception_fp_ieee_invalid_op 0
		.amdhsa_exception_fp_denorm_src 0
		.amdhsa_exception_fp_ieee_div_zero 0
		.amdhsa_exception_fp_ieee_overflow 0
		.amdhsa_exception_fp_ieee_underflow 0
		.amdhsa_exception_fp_ieee_inexact 0
		.amdhsa_exception_int_div_zero 0
	.end_amdhsa_kernel
	.text
.Lfunc_end0:
	.size	fft_rtc_back_len864_factors_3_6_16_3_wgs_54_tpt_54_halfLds_sp_ip_CI_unitstride_sbrr_R2C_dirReg, .Lfunc_end0-fft_rtc_back_len864_factors_3_6_16_3_wgs_54_tpt_54_halfLds_sp_ip_CI_unitstride_sbrr_R2C_dirReg
                                        ; -- End function
	.section	.AMDGPU.csdata,"",@progbits
; Kernel info:
; codeLenInByte = 8864
; NumSgprs: 26
; NumVgprs: 70
; ScratchSize: 0
; MemoryBound: 0
; FloatMode: 240
; IeeeMode: 1
; LDSByteSize: 0 bytes/workgroup (compile time only)
; SGPRBlocks: 3
; VGPRBlocks: 17
; NumSGPRsForWavesPerEU: 26
; NumVGPRsForWavesPerEU: 70
; Occupancy: 3
; WaveLimiterHint : 1
; COMPUTE_PGM_RSRC2:SCRATCH_EN: 0
; COMPUTE_PGM_RSRC2:USER_SGPR: 6
; COMPUTE_PGM_RSRC2:TRAP_HANDLER: 0
; COMPUTE_PGM_RSRC2:TGID_X_EN: 1
; COMPUTE_PGM_RSRC2:TGID_Y_EN: 0
; COMPUTE_PGM_RSRC2:TGID_Z_EN: 0
; COMPUTE_PGM_RSRC2:TIDIG_COMP_CNT: 0
	.type	__hip_cuid_731f1c2309dff7e7,@object ; @__hip_cuid_731f1c2309dff7e7
	.section	.bss,"aw",@nobits
	.globl	__hip_cuid_731f1c2309dff7e7
__hip_cuid_731f1c2309dff7e7:
	.byte	0                               ; 0x0
	.size	__hip_cuid_731f1c2309dff7e7, 1

	.ident	"AMD clang version 19.0.0git (https://github.com/RadeonOpenCompute/llvm-project roc-6.4.0 25133 c7fe45cf4b819c5991fe208aaa96edf142730f1d)"
	.section	".note.GNU-stack","",@progbits
	.addrsig
	.addrsig_sym __hip_cuid_731f1c2309dff7e7
	.amdgpu_metadata
---
amdhsa.kernels:
  - .args:
      - .actual_access:  read_only
        .address_space:  global
        .offset:         0
        .size:           8
        .value_kind:     global_buffer
      - .offset:         8
        .size:           8
        .value_kind:     by_value
      - .actual_access:  read_only
        .address_space:  global
        .offset:         16
        .size:           8
        .value_kind:     global_buffer
      - .actual_access:  read_only
        .address_space:  global
        .offset:         24
        .size:           8
        .value_kind:     global_buffer
      - .offset:         32
        .size:           8
        .value_kind:     by_value
      - .actual_access:  read_only
        .address_space:  global
        .offset:         40
        .size:           8
        .value_kind:     global_buffer
      - .actual_access:  read_only
        .address_space:  global
        .offset:         48
        .size:           8
        .value_kind:     global_buffer
      - .offset:         56
        .size:           4
        .value_kind:     by_value
      - .actual_access:  read_only
        .address_space:  global
        .offset:         64
        .size:           8
        .value_kind:     global_buffer
      - .actual_access:  read_only
        .address_space:  global
        .offset:         72
        .size:           8
        .value_kind:     global_buffer
      - .address_space:  global
        .offset:         80
        .size:           8
        .value_kind:     global_buffer
    .group_segment_fixed_size: 0
    .kernarg_segment_align: 8
    .kernarg_segment_size: 88
    .language:       OpenCL C
    .language_version:
      - 2
      - 0
    .max_flat_workgroup_size: 54
    .name:           fft_rtc_back_len864_factors_3_6_16_3_wgs_54_tpt_54_halfLds_sp_ip_CI_unitstride_sbrr_R2C_dirReg
    .private_segment_fixed_size: 0
    .sgpr_count:     26
    .sgpr_spill_count: 0
    .symbol:         fft_rtc_back_len864_factors_3_6_16_3_wgs_54_tpt_54_halfLds_sp_ip_CI_unitstride_sbrr_R2C_dirReg.kd
    .uniform_work_group_size: 1
    .uses_dynamic_stack: false
    .vgpr_count:     70
    .vgpr_spill_count: 0
    .wavefront_size: 64
amdhsa.target:   amdgcn-amd-amdhsa--gfx906
amdhsa.version:
  - 1
  - 2
...

	.end_amdgpu_metadata
